;; amdgpu-corpus repo=ROCm/rocFFT kind=compiled arch=gfx950 opt=O3
	.text
	.amdgcn_target "amdgcn-amd-amdhsa--gfx950"
	.amdhsa_code_object_version 6
	.protected	fft_rtc_fwd_len168_factors_7_6_4_wgs_252_tpt_42_halfLds_sp_ip_CI_sbcc_twdbase5_3step_dirReg_intrinsicReadWrite ; -- Begin function fft_rtc_fwd_len168_factors_7_6_4_wgs_252_tpt_42_halfLds_sp_ip_CI_sbcc_twdbase5_3step_dirReg_intrinsicReadWrite
	.globl	fft_rtc_fwd_len168_factors_7_6_4_wgs_252_tpt_42_halfLds_sp_ip_CI_sbcc_twdbase5_3step_dirReg_intrinsicReadWrite
	.p2align	8
	.type	fft_rtc_fwd_len168_factors_7_6_4_wgs_252_tpt_42_halfLds_sp_ip_CI_sbcc_twdbase5_3step_dirReg_intrinsicReadWrite,@function
fft_rtc_fwd_len168_factors_7_6_4_wgs_252_tpt_42_halfLds_sp_ip_CI_sbcc_twdbase5_3step_dirReg_intrinsicReadWrite: ; @fft_rtc_fwd_len168_factors_7_6_4_wgs_252_tpt_42_halfLds_sp_ip_CI_sbcc_twdbase5_3step_dirReg_intrinsicReadWrite
; %bb.0:
	s_load_dwordx8 s[4:11], s[0:1], 0x8
	s_movk_i32 s3, 0x60
	v_cmp_gt_u32_e32 vcc, s3, v0
	s_and_saveexec_b64 s[12:13], vcc
	s_cbranch_execz .LBB0_2
; %bb.1:
	v_lshlrev_b32_e32 v1, 3, v0
	s_waitcnt lgkmcnt(0)
	global_load_dwordx2 v[2:3], v1, s[4:5]
	v_add_u32_e32 v1, 0, v1
	s_waitcnt vmcnt(0)
	ds_write_b64 v1, v[2:3] offset:4032
.LBB0_2:
	s_or_b64 exec, exec, s[12:13]
	s_waitcnt lgkmcnt(0)
	s_load_dwordx2 s[4:5], s[8:9], 0x8
	s_mov_b32 s3, 0
	s_mov_b64 s[24:25], 0
	s_waitcnt lgkmcnt(0)
	s_add_u32 s12, s4, -1
	s_addc_u32 s13, s5, -1
	s_add_u32 s14, 0, 0xaaa80000
	s_addc_u32 s15, 0, 0xaa
	s_mul_hi_u32 s17, s14, -6
	s_add_i32 s15, s15, 0x2aaaaa00
	s_sub_i32 s17, s17, s14
	s_mul_i32 s20, s15, -6
	s_mul_i32 s16, s14, -6
	s_add_i32 s17, s17, s20
	s_mul_hi_u32 s18, s15, s16
	s_mul_i32 s19, s15, s16
	s_mul_i32 s21, s14, s17
	s_mul_hi_u32 s16, s14, s16
	s_mul_hi_u32 s20, s14, s17
	s_add_u32 s16, s16, s21
	s_addc_u32 s20, 0, s20
	s_add_u32 s16, s16, s19
	s_mul_hi_u32 s21, s15, s17
	s_addc_u32 s16, s20, s18
	s_addc_u32 s18, s21, 0
	s_mul_i32 s17, s15, s17
	s_add_u32 s16, s16, s17
	v_mov_b32_e32 v1, s16
	s_addc_u32 s17, 0, s18
	v_add_co_u32_e32 v1, vcc, s14, v1
	s_cmp_lg_u64 vcc, 0
	s_addc_u32 s14, s15, s17
	v_readfirstlane_b32 s17, v1
	s_mul_i32 s16, s12, s14
	s_mul_hi_u32 s18, s12, s17
	s_mul_hi_u32 s15, s12, s14
	s_add_u32 s16, s18, s16
	s_addc_u32 s15, 0, s15
	s_mul_hi_u32 s19, s13, s17
	s_mul_i32 s17, s13, s17
	s_add_u32 s16, s16, s17
	s_mul_hi_u32 s18, s13, s14
	s_addc_u32 s15, s15, s19
	s_addc_u32 s16, s18, 0
	s_mul_i32 s14, s13, s14
	s_add_u32 s14, s15, s14
	s_addc_u32 s15, 0, s16
	s_add_u32 s16, s14, 1
	s_addc_u32 s17, s15, 0
	s_add_u32 s18, s14, 2
	s_mul_i32 s20, s15, 6
	s_mul_hi_u32 s21, s14, 6
	s_addc_u32 s19, s15, 0
	s_add_i32 s21, s21, s20
	s_mul_i32 s20, s14, 6
	v_mov_b32_e32 v1, s20
	v_sub_co_u32_e32 v1, vcc, s12, v1
	s_cmp_lg_u64 vcc, 0
	s_subb_u32 s12, s13, s21
	v_subrev_co_u32_e32 v2, vcc, 6, v1
	s_cmp_lg_u64 vcc, 0
	s_subb_u32 s13, s12, 0
	v_readfirstlane_b32 s20, v2
	s_cmp_gt_u32 s20, 5
	s_cselect_b32 s20, -1, 0
	s_cmp_eq_u32 s13, 0
	s_cselect_b32 s13, s20, -1
	s_cmp_lg_u32 s13, 0
	s_cselect_b32 s13, s18, s16
	s_cselect_b32 s16, s19, s17
	v_readfirstlane_b32 s17, v1
	s_cmp_gt_u32 s17, 5
	s_cselect_b32 s17, -1, 0
	s_cmp_eq_u32 s12, 0
	s_cselect_b32 s12, s17, -1
	s_cmp_lg_u32 s12, 0
	s_cselect_b32 s13, s13, s14
	s_cselect_b32 s12, s16, s15
	s_add_u32 s20, s13, 1
	s_addc_u32 s21, s12, 0
	v_mov_b64_e32 v[2:3], s[20:21]
	v_cmp_lt_u64_e32 vcc, s[2:3], v[2:3]
	s_cbranch_vccnz .LBB0_4
; %bb.3:
	v_cvt_f32_u32_e32 v1, s20
	s_sub_i32 s12, 0, s20
	s_mov_b32 s25, s3
	v_rcp_iflag_f32_e32 v1, v1
	s_nop 0
	v_mul_f32_e32 v1, 0x4f7ffffe, v1
	v_cvt_u32_f32_e32 v1, v1
	s_nop 0
	v_readfirstlane_b32 s13, v1
	s_mul_i32 s12, s12, s13
	s_mul_hi_u32 s12, s13, s12
	s_add_i32 s13, s13, s12
	s_mul_hi_u32 s12, s2, s13
	s_mul_i32 s14, s12, s20
	s_sub_i32 s14, s2, s14
	s_add_i32 s13, s12, 1
	s_sub_i32 s15, s14, s20
	s_cmp_ge_u32 s14, s20
	s_cselect_b32 s12, s13, s12
	s_cselect_b32 s14, s15, s14
	s_add_i32 s13, s12, 1
	s_cmp_ge_u32 s14, s20
	s_cselect_b32 s24, s13, s12
.LBB0_4:
	s_load_dwordx2 s[16:17], s[0:1], 0x58
	s_load_dwordx2 s[18:19], s[0:1], 0x0
	s_load_dwordx4 s[12:15], s[10:11], 0x0
	s_mul_i32 s0, s24, s21
	s_mul_hi_u32 s1, s24, s20
	s_add_i32 s1, s1, s0
	s_mul_i32 s0, s24, s20
	s_sub_u32 s0, s2, s0
	s_subb_u32 s1, 0, s1
	s_mul_i32 s1, s1, 6
	s_waitcnt lgkmcnt(0)
	s_mul_hi_u32 s13, s0, 6
	s_add_i32 s23, s13, s1
	s_mul_i32 s22, s0, 6
	s_mul_i32 s0, s14, s23
	s_mul_hi_u32 s1, s14, s22
	s_add_i32 s0, s1, s0
	s_mul_i32 s1, s15, s22
	s_add_i32 s15, s0, s1
	v_cmp_lt_u64_e64 s[0:1], s[6:7], 3
	s_mul_i32 s13, s14, s22
	s_and_b64 vcc, exec, s[0:1]
	s_cbranch_vccnz .LBB0_14
; %bb.5:
	s_add_u32 s26, s10, 16
	s_addc_u32 s27, s11, 0
	s_add_u32 s8, s8, 16
	s_addc_u32 s9, s9, 0
	s_mov_b64 s[28:29], 2
	s_mov_b32 s30, 0
	v_mov_b64_e32 v[2:3], s[6:7]
.LBB0_6:                                ; =>This Inner Loop Header: Depth=1
	s_load_dwordx2 s[34:35], s[8:9], 0x0
	s_waitcnt lgkmcnt(0)
	s_or_b64 s[0:1], s[24:25], s[34:35]
	s_mov_b32 s31, s1
	s_cmp_lg_u64 s[30:31], 0
	s_cbranch_scc0 .LBB0_11
; %bb.7:                                ;   in Loop: Header=BB0_6 Depth=1
	v_cvt_f32_u32_e32 v1, s34
	v_cvt_f32_u32_e32 v4, s35
	s_sub_u32 s0, 0, s34
	s_subb_u32 s1, 0, s35
	v_fmac_f32_e32 v1, 0x4f800000, v4
	v_rcp_f32_e32 v1, v1
	s_nop 0
	v_mul_f32_e32 v1, 0x5f7ffffc, v1
	v_mul_f32_e32 v4, 0x2f800000, v1
	v_trunc_f32_e32 v4, v4
	v_fmac_f32_e32 v1, 0xcf800000, v4
	v_cvt_u32_f32_e32 v4, v4
	v_cvt_u32_f32_e32 v1, v1
	v_readfirstlane_b32 s31, v4
	v_readfirstlane_b32 s33, v1
	s_mul_i32 s36, s0, s31
	s_mul_hi_u32 s38, s0, s33
	s_mul_i32 s37, s1, s33
	s_add_i32 s36, s38, s36
	s_mul_i32 s39, s0, s33
	s_add_i32 s36, s36, s37
	s_mul_hi_u32 s37, s33, s36
	s_mul_i32 s38, s33, s36
	s_mul_hi_u32 s33, s33, s39
	s_add_u32 s33, s33, s38
	s_addc_u32 s37, 0, s37
	s_mul_hi_u32 s40, s31, s39
	s_mul_i32 s39, s31, s39
	s_add_u32 s33, s33, s39
	s_mul_hi_u32 s38, s31, s36
	s_addc_u32 s33, s37, s40
	s_addc_u32 s37, s38, 0
	s_mul_i32 s36, s31, s36
	s_add_u32 s33, s33, s36
	s_addc_u32 s36, 0, s37
	v_add_co_u32_e32 v1, vcc, s33, v1
	s_cmp_lg_u64 vcc, 0
	s_addc_u32 s31, s31, s36
	v_readfirstlane_b32 s36, v1
	s_mul_i32 s33, s0, s31
	s_mul_hi_u32 s37, s0, s36
	s_add_i32 s33, s37, s33
	s_mul_i32 s1, s1, s36
	s_add_i32 s33, s33, s1
	s_mul_i32 s0, s0, s36
	s_mul_hi_u32 s37, s31, s0
	s_mul_i32 s38, s31, s0
	s_mul_i32 s40, s36, s33
	s_mul_hi_u32 s0, s36, s0
	s_mul_hi_u32 s39, s36, s33
	s_add_u32 s0, s0, s40
	s_addc_u32 s36, 0, s39
	s_add_u32 s0, s0, s38
	s_mul_hi_u32 s1, s31, s33
	s_addc_u32 s0, s36, s37
	s_addc_u32 s1, s1, 0
	s_mul_i32 s33, s31, s33
	s_add_u32 s0, s0, s33
	s_addc_u32 s1, 0, s1
	v_add_co_u32_e32 v1, vcc, s0, v1
	s_cmp_lg_u64 vcc, 0
	s_addc_u32 s0, s31, s1
	v_readfirstlane_b32 s33, v1
	s_mul_i32 s31, s24, s0
	s_mul_hi_u32 s36, s24, s33
	s_mul_hi_u32 s1, s24, s0
	s_add_u32 s31, s36, s31
	s_addc_u32 s1, 0, s1
	s_mul_hi_u32 s37, s25, s33
	s_mul_i32 s33, s25, s33
	s_add_u32 s31, s31, s33
	s_mul_hi_u32 s36, s25, s0
	s_addc_u32 s1, s1, s37
	s_addc_u32 s31, s36, 0
	s_mul_i32 s0, s25, s0
	s_add_u32 s33, s1, s0
	s_addc_u32 s31, 0, s31
	s_mul_i32 s0, s34, s31
	s_mul_hi_u32 s1, s34, s33
	s_add_i32 s0, s1, s0
	s_mul_i32 s1, s35, s33
	s_add_i32 s36, s0, s1
	s_mul_i32 s1, s34, s33
	v_mov_b32_e32 v1, s1
	s_sub_i32 s0, s25, s36
	v_sub_co_u32_e32 v1, vcc, s24, v1
	s_cmp_lg_u64 vcc, 0
	s_subb_u32 s37, s0, s35
	v_subrev_co_u32_e64 v4, s[0:1], s34, v1
	s_cmp_lg_u64 s[0:1], 0
	s_subb_u32 s0, s37, 0
	s_cmp_ge_u32 s0, s35
	v_readfirstlane_b32 s37, v4
	s_cselect_b32 s1, -1, 0
	s_cmp_ge_u32 s37, s34
	s_cselect_b32 s37, -1, 0
	s_cmp_eq_u32 s0, s35
	s_cselect_b32 s0, s37, s1
	s_add_u32 s1, s33, 1
	s_addc_u32 s37, s31, 0
	s_add_u32 s38, s33, 2
	s_addc_u32 s39, s31, 0
	s_cmp_lg_u32 s0, 0
	s_cselect_b32 s0, s38, s1
	s_cselect_b32 s1, s39, s37
	s_cmp_lg_u64 vcc, 0
	s_subb_u32 s36, s25, s36
	s_cmp_ge_u32 s36, s35
	v_readfirstlane_b32 s38, v1
	s_cselect_b32 s37, -1, 0
	s_cmp_ge_u32 s38, s34
	s_cselect_b32 s38, -1, 0
	s_cmp_eq_u32 s36, s35
	s_cselect_b32 s36, s38, s37
	s_cmp_lg_u32 s36, 0
	s_cselect_b32 s1, s1, s31
	s_cselect_b32 s0, s0, s33
	s_cbranch_execnz .LBB0_9
.LBB0_8:                                ;   in Loop: Header=BB0_6 Depth=1
	v_cvt_f32_u32_e32 v1, s34
	s_sub_i32 s0, 0, s34
	v_rcp_iflag_f32_e32 v1, v1
	s_nop 0
	v_mul_f32_e32 v1, 0x4f7ffffe, v1
	v_cvt_u32_f32_e32 v1, v1
	s_nop 0
	v_readfirstlane_b32 s1, v1
	s_mul_i32 s0, s0, s1
	s_mul_hi_u32 s0, s1, s0
	s_add_i32 s1, s1, s0
	s_mul_hi_u32 s0, s24, s1
	s_mul_i32 s31, s0, s34
	s_sub_i32 s31, s24, s31
	s_add_i32 s1, s0, 1
	s_sub_i32 s33, s31, s34
	s_cmp_ge_u32 s31, s34
	s_cselect_b32 s0, s1, s0
	s_cselect_b32 s31, s33, s31
	s_add_i32 s1, s0, 1
	s_cmp_ge_u32 s31, s34
	s_cselect_b32 s0, s1, s0
	s_mov_b32 s1, s30
.LBB0_9:                                ;   in Loop: Header=BB0_6 Depth=1
	s_mul_i32 s21, s34, s21
	s_mul_hi_u32 s31, s34, s20
	s_add_i32 s21, s31, s21
	s_mul_i32 s31, s35, s20
	s_add_i32 s21, s21, s31
	s_mul_i32 s31, s0, s35
	s_mul_hi_u32 s33, s0, s34
	s_load_dwordx2 s[36:37], s[26:27], 0x0
	s_add_i32 s31, s33, s31
	s_mul_i32 s33, s1, s34
	s_add_i32 s31, s31, s33
	s_mul_i32 s33, s0, s34
	s_sub_u32 s24, s24, s33
	s_subb_u32 s25, s25, s31
	s_waitcnt lgkmcnt(0)
	s_mul_i32 s25, s36, s25
	s_mul_hi_u32 s31, s36, s24
	s_add_i32 s25, s31, s25
	s_mul_i32 s31, s37, s24
	s_add_i32 s25, s25, s31
	s_mul_i32 s24, s36, s24
	s_add_u32 s13, s24, s13
	s_addc_u32 s15, s25, s15
	s_add_u32 s28, s28, 1
	s_addc_u32 s29, s29, 0
	;; [unrolled: 2-line block ×3, first 2 shown]
	s_add_u32 s8, s8, 8
	v_cmp_ge_u64_e32 vcc, s[28:29], v[2:3]
	s_mul_i32 s20, s34, s20
	s_addc_u32 s9, s9, 0
	s_cbranch_vccnz .LBB0_12
; %bb.10:                               ;   in Loop: Header=BB0_6 Depth=1
	s_mov_b64 s[24:25], s[0:1]
	s_branch .LBB0_6
.LBB0_11:                               ;   in Loop: Header=BB0_6 Depth=1
                                        ; implicit-def: $sgpr0_sgpr1
	s_branch .LBB0_8
.LBB0_12:
	v_mov_b64_e32 v[2:3], s[20:21]
	v_cmp_lt_u64_e32 vcc, s[2:3], v[2:3]
	s_mov_b64 s[24:25], 0
	s_cbranch_vccnz .LBB0_14
; %bb.13:
	v_cvt_f32_u32_e32 v1, s20
	s_sub_i32 s0, 0, s20
	v_rcp_iflag_f32_e32 v1, v1
	s_nop 0
	v_mul_f32_e32 v1, 0x4f7ffffe, v1
	v_cvt_u32_f32_e32 v1, v1
	s_nop 0
	v_readfirstlane_b32 s1, v1
	s_mul_i32 s0, s0, s1
	s_mul_hi_u32 s0, s1, s0
	s_add_i32 s1, s1, s0
	s_mul_hi_u32 s0, s2, s1
	s_mul_i32 s3, s0, s20
	s_sub_i32 s2, s2, s3
	s_add_i32 s1, s0, 1
	s_sub_i32 s3, s2, s20
	s_cmp_ge_u32 s2, s20
	s_cselect_b32 s0, s1, s0
	s_cselect_b32 s2, s3, s2
	s_add_i32 s1, s0, 1
	s_cmp_ge_u32 s2, s20
	s_cselect_b32 s24, s1, s0
.LBB0_14:
	s_lshl_b64 s[0:1], s[6:7], 3
	s_add_u32 s0, s10, s0
	s_addc_u32 s1, s11, s1
	s_load_dwordx2 s[0:1], s[0:1], 0x0
	s_waitcnt lgkmcnt(0)
	s_mov_b32 s1, 0x2aaaaaab
	v_mul_hi_u32 v1, v0, s1
	v_mul_u32_u24_e32 v2, 6, v1
	v_sub_u32_e32 v16, v0, v2
	s_mul_i32 s0, s0, s24
	s_add_u32 s8, s0, s13
	s_add_u32 s0, s22, 6
	s_addc_u32 s1, s23, 0
	v_mov_b64_e32 v[2:3], s[4:5]
	v_mov_b32_e32 v8, 0
	v_cmp_le_u64_e32 vcc, s[0:1], v[2:3]
	v_mad_u64_u32 v[2:3], s[0:1], s14, v16, 0
	v_mov_b32_e32 v17, v8
	s_movk_i32 s0, 0x90
	s_movk_i32 s1, 0x8f
	v_lshl_add_u64 v[4:5], s[22:23], 0, v[16:17]
	v_cmp_lt_u32_e64 s[2:3], s1, v0
	v_cmp_gt_u32_e64 s[0:1], s0, v0
	s_or_b64 s[2:3], s[2:3], vcc
	v_mov_b32_e32 v10, 0
	v_cndmask_b32_e64 v3, 0, 1, s[0:1]
	v_cmp_gt_u64_e64 s[0:1], s[4:5], v[4:5]
	v_mov_b32_e32 v11, v8
	s_nop 0
	v_cndmask_b32_e64 v5, 0, 1, s[0:1]
	v_cndmask_b32_e64 v3, v5, v3, s[2:3]
	v_and_b32_e32 v3, 1, v3
	v_cmp_eq_u32_e64 s[2:3], 1, v3
	s_and_saveexec_b64 s[4:5], s[2:3]
	s_cbranch_execz .LBB0_16
; %bb.15:
	v_mul_lo_u32 v3, s12, v1
	v_add3_u32 v6, s8, v2, v3
	v_mov_b32_e32 v7, v8
	v_lshl_add_u64 v[6:7], v[6:7], 3, s[16:17]
	global_load_dwordx2 v[10:11], v[6:7], off
.LBB0_16:
	s_or_b64 exec, exec, s[4:5]
	v_mov_b32_e32 v9, 0
	s_and_saveexec_b64 s[4:5], s[2:3]
	s_cbranch_execz .LBB0_18
; %bb.17:
	v_add_u32_e32 v3, 24, v1
	v_mul_lo_u32 v3, s12, v3
	v_add3_u32 v6, s8, v2, v3
	v_mov_b32_e32 v7, 0
	v_lshl_add_u64 v[6:7], v[6:7], 3, s[16:17]
	global_load_dwordx2 v[8:9], v[6:7], off
.LBB0_18:
	s_or_b64 exec, exec, s[4:5]
	v_mov_b32_e32 v20, 0
	v_mov_b32_e32 v18, 0
	;; [unrolled: 1-line block ×3, first 2 shown]
	s_and_saveexec_b64 s[4:5], s[2:3]
	s_cbranch_execz .LBB0_20
; %bb.19:
	v_add_u32_e32 v3, 48, v1
	v_mul_lo_u32 v3, s12, v3
	v_add3_u32 v6, s8, v2, v3
	v_mov_b32_e32 v7, 0
	v_lshl_add_u64 v[6:7], v[6:7], 3, s[16:17]
	global_load_dwordx2 v[18:19], v[6:7], off
.LBB0_20:
	s_or_b64 exec, exec, s[4:5]
	v_mov_b32_e32 v21, 0
	s_and_saveexec_b64 s[4:5], s[2:3]
	s_cbranch_execz .LBB0_22
; %bb.21:
	v_add_u32_e32 v3, 0x48, v1
	v_mul_lo_u32 v3, s12, v3
	v_add3_u32 v6, s8, v2, v3
	v_mov_b32_e32 v7, 0
	v_lshl_add_u64 v[6:7], v[6:7], 3, s[16:17]
	global_load_dwordx2 v[20:21], v[6:7], off
.LBB0_22:
	s_or_b64 exec, exec, s[4:5]
	v_mov_b32_e32 v24, 0
	v_mov_b32_e32 v26, 0
	;; [unrolled: 1-line block ×3, first 2 shown]
	s_and_saveexec_b64 s[4:5], s[2:3]
	s_cbranch_execz .LBB0_24
; %bb.23:
	v_add_u32_e32 v3, 0x60, v1
	v_mul_lo_u32 v3, s12, v3
	v_add3_u32 v6, s8, v2, v3
	v_mov_b32_e32 v7, 0
	v_lshl_add_u64 v[6:7], v[6:7], 3, s[16:17]
	global_load_dwordx2 v[26:27], v[6:7], off
.LBB0_24:
	s_or_b64 exec, exec, s[4:5]
	v_mov_b32_e32 v25, 0
	s_and_saveexec_b64 s[4:5], s[2:3]
	s_cbranch_execz .LBB0_26
; %bb.25:
	v_add_u32_e32 v3, 0x78, v1
	v_mul_lo_u32 v3, s12, v3
	v_add3_u32 v6, s8, v2, v3
	v_mov_b32_e32 v7, 0
	v_lshl_add_u64 v[6:7], v[6:7], 3, s[16:17]
	global_load_dwordx2 v[24:25], v[6:7], off
.LBB0_26:
	s_or_b64 exec, exec, s[4:5]
	v_mov_b32_e32 v28, 0
	v_mov_b32_e32 v29, 0
	s_and_saveexec_b64 s[4:5], s[2:3]
	s_cbranch_execz .LBB0_28
; %bb.27:
	v_add_u32_e32 v3, 0x90, v1
	v_mul_lo_u32 v3, s12, v3
	v_add3_u32 v6, s8, v2, v3
	v_mov_b32_e32 v7, 0
	v_lshl_add_u64 v[6:7], v[6:7], 3, s[16:17]
	global_load_dwordx2 v[28:29], v[6:7], off
.LBB0_28:
	s_or_b64 exec, exec, s[4:5]
	s_waitcnt vmcnt(0)
	v_pk_add_f32 v[32:33], v[18:19], v[24:25] neg_lo:[0,1] neg_hi:[0,1]
	v_pk_add_f32 v[22:23], v[26:27], v[20:21] neg_lo:[0,1] neg_hi:[0,1]
	v_pk_add_f32 v[12:13], v[8:9], v[28:29] neg_lo:[0,1] neg_hi:[0,1]
	v_pk_add_f32 v[34:35], v[22:23], v[32:33]
	v_mov_b32_e32 v15, v13
	v_mov_b32_e32 v22, v35
	;; [unrolled: 1-line block ×3, first 2 shown]
	v_sub_f32_e32 v5, v23, v33
	v_pk_add_f32 v[22:23], v[22:23], v[12:13] op_sel:[0,1]
	v_pk_add_f32 v[12:13], v[32:33], v[12:13] neg_lo:[0,1] neg_hi:[0,1]
	s_mov_b32 s2, 0x3ee1c552
	v_mov_b32_e32 v23, v13
	s_mov_b32 s3, 0x3f5ff5aa
	v_pk_add_f32 v[6:7], v[8:9], v[28:29]
	v_pk_mul_f32 v[12:13], v[22:23], s[2:3]
	v_pk_add_f32 v[22:23], v[18:19], v[24:25]
	v_pk_add_f32 v[30:31], v[26:27], v[20:21]
	v_pk_add_f32 v[34:35], v[22:23], v[6:7]
	v_mov_b32_e32 v14, v6
	v_mov_b32_e32 v3, v34
	v_sub_f32_e32 v17, v22, v6
	v_pk_add_f32 v[6:7], v[30:31], v[2:3] op_sel_hi:[0,1]
	v_mov_b32_e32 v36, v30
	v_pk_add_f32 v[38:39], v[30:31], v[22:23] neg_lo:[0,1] neg_hi:[0,1]
	v_mov_b32_e32 v6, v7
	s_mov_b32 s4, 0x3f4a47b2
	v_mov_b32_e32 v39, v7
	v_pk_add_f32 v[6:7], v[10:11], v[6:7]
	s_mov_b32 s2, 0x3d64c772
	v_pk_add_f32 v[14:15], v[14:15], v[36:37] neg_lo:[0,1] neg_hi:[0,1]
	s_mov_b32 s5, 0x3eae86e6
	s_mov_b32 s3, 0x3f955555
	v_mul_f32_e32 v22, 0x3f3bfb3b, v17
	v_mov_b32_e32 v23, v6
	v_pk_mul_f32 v[36:37], v[14:15], s[4:5]
	v_pk_fma_f32 v[40:41], v[38:39], s[2:3], v[22:23] neg_lo:[1,0,0] neg_hi:[1,0,0]
	s_mov_b32 s6, 0xbf3bfb3b
	v_pk_fma_f32 v[38:39], v[38:39], s[2:3], v[36:37]
	v_pk_fma_f32 v[14:15], v[14:15], s[4:5], v[12:13] neg_lo:[1,0,1] neg_hi:[1,0,1]
	v_fmamk_f32 v3, v5, 0x3f08b237, v13
	v_mov_b32_e32 v10, v41
	v_fma_f32 v43, v17, s6, -v36
	v_fmamk_f32 v42, v5, 0xbf08b237, v37
	v_mov_b32_e32 v39, v15
	v_mov_b32_e32 v13, v41
	;; [unrolled: 1-line block ×4, first 2 shown]
	v_pk_add_f32 v[22:23], v[40:41], v[10:11]
	v_pk_add_f32 v[36:37], v[12:13], v[42:43]
	;; [unrolled: 1-line block ×3, first 2 shown]
	v_add_f32_e32 v35, v12, v3
	v_mov_b32_e32 v12, v37
	v_mov_b32_e32 v13, v22
	;; [unrolled: 1-line block ×3, first 2 shown]
	s_movk_i32 s2, 0x8f
	v_pk_add_f32 v[14:15], v[38:39], v[36:37]
	v_pk_add_f32 v[12:13], v[12:13], v[34:35] neg_lo:[0,1] neg_hi:[0,1]
	v_cmp_lt_u32_e64 s[4:5], s2, v0
	s_and_saveexec_b64 s[2:3], s[4:5]
	s_xor_b64 s[2:3], exec, s[2:3]
; %bb.29:
                                        ; implicit-def: $vgpr38_vgpr39
                                        ; implicit-def: $vgpr36_vgpr37
; %bb.30:
	s_or_saveexec_b64 s[2:3], s[2:3]
	v_add_f32_e32 v22, v35, v22
	v_lshlrev_b32_e32 v3, 2, v16
	s_xor_b64 exec, exec, s[2:3]
	s_cbranch_execz .LBB0_32
; %bb.31:
	v_mul_u32_u24_e32 v7, 0xa8, v1
	v_add3_u32 v7, 0, v7, v3
	v_sub_f32_e32 v5, v38, v36
	ds_write2_b32 v7, v6, v14 offset1:6
	ds_write2_b32 v7, v15, v13 offset0:12 offset1:18
	ds_write2_b32 v7, v22, v12 offset0:24 offset1:30
	ds_write_b32 v7, v5 offset:144
.LBB0_32:
	s_or_b64 exec, exec, s[2:3]
	s_movk_i32 s2, 0xa8
	v_cmp_gt_u32_e64 s[2:3], s2, v0
	v_mul_u32_u24_e32 v5, 24, v1
	s_waitcnt lgkmcnt(0)
	s_barrier
	s_and_saveexec_b64 s[6:7], s[2:3]
	s_cbranch_execz .LBB0_34
; %bb.33:
	v_add3_u32 v10, 0, v5, v3
	ds_read2_b32 v[6:7], v10 offset1:168
	v_add_u32_e32 v12, 0x400, v10
	v_add_u32_e32 v10, 0xa00, v10
	ds_read2_b32 v[12:13], v12 offset0:80 offset1:248
	ds_read2_b32 v[22:23], v10 offset0:32 offset1:200
	s_waitcnt lgkmcnt(2)
	v_mov_b32_e32 v14, v7
	s_waitcnt lgkmcnt(1)
	v_mov_b32_e32 v15, v12
	;; [unrolled: 2-line block ×3, first 2 shown]
.LBB0_34:
	s_or_b64 exec, exec, s[6:7]
	v_mov_b32_e32 v16, v8
	v_mov_b32_e32 v17, v26
	;; [unrolled: 1-line block ×4, first 2 shown]
	v_pk_add_f32 v[16:17], v[16:17], v[26:27] neg_lo:[0,1] neg_hi:[0,1]
	v_mov_b32_e32 v28, v25
	v_add_f32_e32 v8, v17, v32
	v_add_f32_e32 v23, v8, v16
	v_mov_b32_e32 v8, v19
	v_pk_add_f32 v[8:9], v[8:9], v[28:29]
	v_mov_b32_e32 v24, v17
	v_mov_b32_e32 v20, v9
	v_pk_add_f32 v[20:21], v[8:9], v[20:21]
	v_mov_b32_e32 v25, v32
	v_sub_f32_e32 v7, v32, v16
	v_pk_add_f32 v[16:17], v[16:17], v[24:25] neg_lo:[0,1] neg_hi:[0,1]
	v_mov_b32_e32 v24, v20
	v_mov_b32_e32 v25, v8
	v_pk_add_f32 v[20:21], v[30:31], v[20:21] op_sel:[1,0]
	v_pk_add_f32 v[24:25], v[30:31], v[24:25] neg_lo:[0,1] neg_hi:[0,1]
	v_sub_f32_e32 v28, v8, v9
	v_mov_b32_e32 v21, v25
	v_mov_b32_e32 v8, v11
	v_mul_f32_e32 v18, 0x3f5ff5aa, v7
	v_sub_f32_e32 v7, v9, v31
	v_pk_add_f32 v[8:9], v[8:9], v[20:21]
	s_mov_b32 s6, 0xbf955555
	s_mov_b32 s7, 0xbd64c772
	v_mul_f32_e32 v9, 0x3f3bfb3b, v28
	s_mov_b32 s10, 0x3eae86e6
	v_mul_f32_e32 v19, 0x3f4a47b2, v7
	;; [unrolled: 2-line block ×3, first 2 shown]
	v_pk_fma_f32 v[20:21], v[20:21], s[6:7], v[8:9]
	s_mov_b32 s6, 0xbf3bfb3b
	v_mul_f32_e32 v10, 0x3ee1c552, v23
	v_pk_mul_f32 v[26:27], v[16:17], s[10:11]
	v_fmac_f32_e32 v11, 0x3f4a47b2, v7
	v_fma_f32 v24, v28, s6, -v19
	v_pk_fma_f32 v[16:17], v[16:17], s[10:11], v[18:19] op_sel_hi:[1,1,0] neg_lo:[1,0,1] neg_hi:[1,0,0]
	v_mov_b32_e32 v25, v20
	v_add_f32_e32 v7, v27, v26
	v_add_f32_e32 v18, v11, v20
	v_pk_add_f32 v[20:21], v[20:21], v[24:25]
	v_pk_add_f32 v[16:17], v[10:11], v[16:17] op_sel_hi:[0,1]
	v_fmac_f32_e32 v7, 0x3ee1c552, v23
	v_pk_add_f32 v[10:11], v[20:21], v[16:17] neg_lo:[0,1] neg_hi:[0,1]
	v_pk_add_f32 v[16:17], v[16:17], v[20:21]
	s_barrier
	s_and_saveexec_b64 s[6:7], s[4:5]
	s_xor_b64 s[4:5], exec, s[6:7]
	s_or_saveexec_b64 s[4:5], s[4:5]
	v_sub_f32_e32 v9, v18, v7
	s_xor_b64 exec, exec, s[4:5]
	s_cbranch_execz .LBB0_36
; %bb.35:
	v_add_f32_e32 v7, v7, v18
	v_mul_u32_u24_e32 v18, 0xa8, v1
	v_add3_u32 v18, 0, v18, v3
	ds_write2_b32 v18, v8, v9 offset1:6
	ds_write2_b32 v18, v10, v17 offset0:12 offset1:18
	ds_write2_b32 v18, v11, v16 offset0:24 offset1:30
	ds_write_b32 v18, v7 offset:144
.LBB0_36:
	s_or_b64 exec, exec, s[4:5]
	s_waitcnt lgkmcnt(0)
	s_barrier
	s_and_saveexec_b64 s[4:5], s[2:3]
	s_cbranch_execz .LBB0_38
; %bb.37:
	v_add3_u32 v7, 0, v5, v3
	v_add_u32_e32 v8, 0x400, v7
	v_add_u32_e32 v9, 0xa00, v7
	ds_read2_b32 v[18:19], v9 offset0:32 offset1:200
	ds_read2_b32 v[10:11], v8 offset0:80 offset1:248
	ds_read2_b32 v[8:9], v7 offset1:168
	s_waitcnt lgkmcnt(2)
	v_mov_b32_e32 v16, v19
	s_waitcnt lgkmcnt(1)
	v_mov_b32_e32 v17, v11
	v_mov_b32_e32 v11, v18
.LBB0_38:
	s_or_b64 exec, exec, s[4:5]
	s_mov_b32 s4, 0x24924925
	v_mul_hi_u32 v7, v1, s4
	v_mul_u32_u24_e32 v7, 7, v7
	v_sub_u32_e32 v18, v1, v7
	v_mul_u32_u24_e32 v7, 5, v18
	v_lshlrev_b32_e32 v7, 3, v7
	global_load_dwordx4 v[26:29], v7, s[18:19]
	global_load_dwordx4 v[30:33], v7, s[18:19] offset:16
	global_load_dwordx2 v[34:35], v7, s[18:19] offset:32
	s_waitcnt lgkmcnt(0)
	s_barrier
	s_waitcnt vmcnt(2)
	v_mul_f32_e32 v7, v9, v27
	v_mul_f32_e32 v19, v14, v27
	v_mul_f32_e32 v23, v15, v29
	s_waitcnt vmcnt(1)
	v_mul_f32_e32 v27, v17, v31
	v_mul_f32_e32 v20, v13, v31
	v_mul_f32_e32 v24, v22, v33
	;; [unrolled: 4-line block ×3, first 2 shown]
	v_mul_f32_e32 v29, v11, v33
	v_fmac_f32_e32 v23, v10, v28
	v_fma_f32 v10, v13, v30, -v27
	v_fmac_f32_e32 v20, v17, v30
	v_fmac_f32_e32 v24, v11, v32
	v_fma_f32 v11, v12, v34, -v31
	v_fmac_f32_e32 v21, v16, v34
	v_fma_f32 v7, v14, v26, -v7
	v_fmac_f32_e32 v19, v9, v26
	v_add_f32_e32 v12, v10, v11
	v_add_f32_e32 v14, v20, v21
	v_fma_f32 v9, v15, v28, -v25
	v_fma_f32 v15, v22, v32, -v29
	v_sub_f32_e32 v13, v20, v21
	v_sub_f32_e32 v22, v10, v11
	v_fma_f32 v12, -0.5, v12, v7
	v_fma_f32 v14, -0.5, v14, v19
	v_fmamk_f32 v16, v13, 0x3f5db3d7, v12
	v_fmac_f32_e32 v12, 0xbf5db3d7, v13
	v_fmamk_f32 v17, v22, 0xbf5db3d7, v14
	v_fmac_f32_e32 v14, 0x3f5db3d7, v22
	v_mul_lo_u16_e32 v13, 37, v1
	s_and_saveexec_b64 s[4:5], s[2:3]
	s_cbranch_execz .LBB0_40
; %bb.39:
	v_add_f32_e32 v22, v9, v15
	v_fma_f32 v22, -0.5, v22, v6
	v_add_f32_e32 v6, v6, v9
	v_add_f32_e32 v7, v7, v10
	;; [unrolled: 1-line block ×4, first 2 shown]
	v_sub_f32_e32 v25, v23, v24
	v_sub_f32_e32 v10, v6, v7
	v_add_f32_e32 v6, v6, v7
	v_lshrrev_b16_e32 v7, 8, v13
	v_fmamk_f32 v26, v25, 0xbf5db3d7, v22
	v_fmac_f32_e32 v22, 0x3f5db3d7, v25
	v_mul_f32_e32 v25, 0x3f5db3d7, v17
	v_mad_u32_u24 v7, v7, 42, v18
	v_mul_f32_e32 v27, -0.5, v12
	v_fmac_f32_e32 v25, 0.5, v16
	v_mul_i32_i24_e32 v7, 24, v7
	v_fmac_f32_e32 v27, 0x3f5db3d7, v14
	v_sub_f32_e32 v29, v22, v25
	v_add_f32_e32 v22, v22, v25
	v_add3_u32 v7, 0, v7, v3
	v_sub_f32_e32 v28, v26, v27
	v_add_f32_e32 v11, v26, v27
	ds_write2_b32 v7, v6, v22 offset1:42
	ds_write2_b32 v7, v11, v10 offset0:84 offset1:126
	ds_write2_b32 v7, v29, v28 offset0:168 offset1:210
.LBB0_40:
	s_or_b64 exec, exec, s[4:5]
	v_add3_u32 v5, 0, v5, v3
	v_add_u32_e32 v10, 0x7e0, v5
	s_waitcnt lgkmcnt(0)
	s_barrier
	ds_read2_b32 v[6:7], v5 offset1:252
	ds_read2_b32 v[10:11], v10 offset1:252
	s_waitcnt lgkmcnt(0)
	s_barrier
	s_and_saveexec_b64 s[4:5], s[2:3]
	s_cbranch_execz .LBB0_42
; %bb.41:
	v_add_f32_e32 v22, v8, v23
	v_add_f32_e32 v23, v23, v24
	v_fmac_f32_e32 v8, -0.5, v23
	v_sub_f32_e32 v9, v9, v15
	v_lshrrev_b16_e32 v13, 8, v13
	v_fmamk_f32 v15, v9, 0xbf5db3d7, v8
	v_fmamk_f32 v8, v9, 0x3f5db3d7, v8
	v_add_f32_e32 v9, v19, v20
	v_mul_f32_e32 v16, 0xbf5db3d7, v16
	v_mad_u32_u24 v13, v13, 42, v18
	v_add_f32_e32 v22, v22, v24
	v_add_f32_e32 v9, v9, v21
	v_fmac_f32_e32 v16, 0.5, v17
	v_mul_f32_e32 v14, -0.5, v14
	v_mul_i32_i24_e32 v13, 24, v13
	v_add_f32_e32 v19, v22, v9
	v_add_f32_e32 v17, v15, v16
	v_fmac_f32_e32 v14, 0xbf5db3d7, v12
	v_add3_u32 v3, 0, v13, v3
	v_add_f32_e32 v12, v8, v14
	v_sub_f32_e32 v9, v22, v9
	v_sub_f32_e32 v15, v15, v16
	;; [unrolled: 1-line block ×3, first 2 shown]
	ds_write2_b32 v3, v19, v17 offset1:42
	ds_write2_b32 v3, v12, v9 offset0:84 offset1:126
	ds_write2_b32 v3, v15, v8 offset0:168 offset1:210
.LBB0_42:
	s_or_b64 exec, exec, s[4:5]
	s_or_b64 s[0:1], vcc, s[0:1]
	s_waitcnt lgkmcnt(0)
	s_barrier
	s_and_saveexec_b64 s[2:3], s[0:1]
	s_cbranch_execz .LBB0_44
; %bb.43:
	s_mov_b32 s0, 0x6186187
	v_mul_hi_u32 v3, v1, s0
	v_mul_u32_u24_e32 v3, 42, v3
	v_sub_u32_e32 v3, v1, v3
	v_mul_u32_u24_e32 v1, 3, v3
	v_lshlrev_b32_e32 v1, 3, v1
	global_load_dwordx4 v[12:15], v1, s[18:19] offset:280
	global_load_dwordx2 v[8:9], v1, s[18:19] offset:296
	s_mov_b32 s0, 0x1041042
	s_movk_i32 s1, 0xa8
	ds_read2_b32 v[16:17], v5 offset1:252
	v_add_u32_e32 v1, 0x7e0, v5
	v_mul_hi_u32 v5, v0, s0
	s_movk_i32 s3, 0xffd6
	v_mad_u32_u24 v34, v5, s1, v3
	v_add_u32_e32 v5, 0x7e, v3
	v_mul_lo_u32 v18, v4, s3
	v_mul_lo_u32 v5, v5, v4
	v_lshrrev_b32_e32 v19, 7, v5
	v_and_b32_e32 v20, 31, v5
	v_lshrrev_b32_e32 v21, 2, v5
	v_add_u32_e32 v5, v5, v18
	s_add_i32 s2, 0, 0xfc0
	v_and_b32_e32 v19, 0xf8, v19
	v_lshrrev_b32_e32 v22, 7, v5
	v_and_b32_e32 v21, 0xf8, v21
	v_and_b32_e32 v23, 31, v5
	v_lshrrev_b32_e32 v24, 2, v5
	v_add_u32_e32 v5, v5, v18
	v_add_u32_e32 v18, s2, v19
	v_and_b32_e32 v19, 0xf8, v22
	v_lshl_add_u32 v20, v20, 3, 0
	v_add_u32_e32 v25, s2, v21
	v_lshl_add_u32 v26, v23, 3, 0
	v_and_b32_e32 v21, 0xf8, v24
	v_lshrrev_b32_e32 v22, 7, v5
	v_and_b32_e32 v23, 31, v5
	v_add_u32_e32 v24, s2, v19
	ds_read2_b32 v[0:1], v1 offset1:252
	v_add_u32_e32 v28, s2, v21
	v_and_b32_e32 v27, 0xf8, v22
	v_lshl_add_u32 v32, v23, 3, 0
	ds_read_b64 v[18:19], v18 offset:512
	ds_read_b64 v[20:21], v20 offset:4032
	;; [unrolled: 1-line block ×4, first 2 shown]
	v_add_u32_e32 v30, s2, v27
	ds_read_b64 v[26:27], v26 offset:4032
	ds_read_b64 v[28:29], v28 offset:256
	ds_read_b64 v[30:31], v30 offset:512
	ds_read_b64 v[32:33], v32 offset:4032
	v_mul_lo_u32 v3, v3, v4
	s_waitcnt lgkmcnt(5)
	v_mul_f32_e32 v35, v21, v23
	v_mul_f32_e32 v23, v20, v23
	v_fma_f32 v20, v20, v22, -v35
	v_fmac_f32_e32 v23, v21, v22
	s_waitcnt lgkmcnt(2)
	v_mul_f32_e32 v21, v27, v29
	v_mul_f32_e32 v22, v26, v29
	;; [unrolled: 1-line block ×4, first 2 shown]
	v_fma_f32 v21, v26, v28, -v21
	v_fmac_f32_e32 v22, v27, v28
	v_fmac_f32_e32 v19, v18, v23
	v_lshrrev_b32_e32 v5, 2, v5
	v_lshrrev_b32_e32 v4, 7, v3
	v_and_b32_e32 v5, 0xf8, v5
	v_and_b32_e32 v4, 0xf8, v4
	v_add_u32_e32 v5, s2, v5
	v_fma_f32 v20, v18, v20, -v29
	v_add_u32_e32 v2, s8, v2
	v_mul_f32_e32 v18, v22, v25
	v_fma_f32 v18, v24, v21, -v18
	s_waitcnt vmcnt(1)
	v_mul_f32_e32 v23, v10, v15
	v_mul_f32_e32 v26, v17, v13
	s_waitcnt vmcnt(0)
	v_mul_f32_e32 v27, v1, v9
	v_mul_f32_e32 v15, v0, v15
	v_mul_f32_e32 v13, v7, v13
	v_mul_f32_e32 v9, v11, v9
	v_fmac_f32_e32 v23, v0, v14
	v_fma_f32 v0, v7, v12, -v26
	v_fma_f32 v7, v11, v8, -v27
	v_fmac_f32_e32 v13, v17, v12
	v_fmac_f32_e32 v9, v1, v8
	v_sub_f32_e32 v8, v16, v23
	v_sub_f32_e32 v1, v0, v7
	;; [unrolled: 1-line block ×3, first 2 shown]
	v_add_f32_e32 v9, v8, v1
	v_fma_f32 v10, v10, v14, -v15
	v_fma_f32 v23, v16, 2.0, -v8
	v_fma_f32 v16, v8, 2.0, -v9
	v_add_u32_e32 v8, s2, v4
	v_and_b32_e32 v4, 31, v3
	v_sub_f32_e32 v14, v6, v10
	v_lshl_add_u32 v10, v4, 3, 0
	ds_read_b64 v[4:5], v5 offset:256
	v_lshrrev_b32_e32 v3, 2, v3
	v_sub_f32_e32 v15, v14, v7
	v_and_b32_e32 v3, 0xf8, v3
	v_fma_f32 v26, v6, 2.0, -v14
	v_fma_f32 v6, v0, 2.0, -v1
	v_mul_f32_e32 v1, v15, v19
	v_add_u32_e32 v3, s2, v3
	v_fma_f32 v7, v13, 2.0, -v7
	v_mul_f32_e32 v0, v9, v19
	v_fmac_f32_e32 v1, v9, v20
	ds_read_b64 v[8:9], v8 offset:512
	ds_read_b64 v[10:11], v10 offset:4032
	;; [unrolled: 1-line block ×3, first 2 shown]
	s_waitcnt lgkmcnt(3)
	v_mul_f32_e32 v3, v33, v5
	v_mul_f32_e32 v5, v32, v5
	v_fmac_f32_e32 v5, v33, v4
	v_fma_f32 v3, v32, v4, -v3
	v_mul_f32_e32 v4, v5, v31
	v_fma_f32 v4, v30, v3, -v4
	v_mul_f32_e32 v3, v3, v31
	v_fma_f32 v14, v14, 2.0, -v15
	v_fmac_f32_e32 v3, v30, v5
	v_mul_f32_e32 v5, v14, v3
	v_mul_f32_e32 v3, v16, v3
	v_fma_f32 v0, v15, v20, -v0
	v_fmac_f32_e32 v5, v16, v4
	v_fma_f32 v4, v14, v4, -v3
	v_mad_u64_u32 v[14:15], s[0:1], s12, v34, v[2:3]
	v_mov_b32_e32 v15, 0
	v_lshl_add_u64 v[16:17], v[14:15], 3, s[16:17]
	s_waitcnt lgkmcnt(0)
	v_mul_f32_e32 v14, v11, v13
	v_fma_f32 v14, v10, v12, -v14
	v_mul_f32_e32 v10, v10, v13
	v_sub_f32_e32 v20, v26, v6
	v_fmac_f32_e32 v10, v12, v11
	v_mul_f32_e32 v13, v9, v14
	v_sub_f32_e32 v19, v23, v7
	v_mul_f32_e32 v11, v9, v10
	v_fma_f32 v12, v26, 2.0, -v20
	v_fmac_f32_e32 v13, v8, v10
	v_fma_f32 v3, v23, 2.0, -v19
	v_fma_f32 v11, v8, v14, -v11
	v_mul_f32_e32 v9, v12, v13
	v_fmac_f32_e32 v9, v3, v11
	v_mul_f32_e32 v3, v3, v13
	v_fma_f32 v8, v12, v11, -v3
	v_add_u32_e32 v3, 42, v34
	global_store_dwordx2 v[16:17], v[8:9], off
	v_mad_u64_u32 v[8:9], s[0:1], s12, v3, v[2:3]
	v_mov_b32_e32 v9, v15
	v_lshl_add_u64 v[8:9], v[8:9], 3, s[16:17]
	v_add_u32_e32 v3, 0x54, v34
	v_mul_f32_e32 v6, v21, v25
	global_store_dwordx2 v[8:9], v[4:5], off
	v_mad_u64_u32 v[4:5], s[0:1], s12, v3, v[2:3]
	v_add_u32_e32 v3, 0x7e, v34
	v_fmac_f32_e32 v6, v24, v22
	v_mad_u64_u32 v[2:3], s[0:1], s12, v3, v[2:3]
	v_mul_f32_e32 v7, v20, v6
	v_mul_f32_e32 v6, v19, v6
	v_mov_b32_e32 v5, v15
	v_mov_b32_e32 v3, v15
	v_fmac_f32_e32 v7, v19, v18
	v_fma_f32 v6, v20, v18, -v6
	v_lshl_add_u64 v[4:5], v[4:5], 3, s[16:17]
	v_lshl_add_u64 v[2:3], v[2:3], 3, s[16:17]
	global_store_dwordx2 v[4:5], v[6:7], off
	global_store_dwordx2 v[2:3], v[0:1], off
.LBB0_44:
	s_endpgm
	.section	.rodata,"a",@progbits
	.p2align	6, 0x0
	.amdhsa_kernel fft_rtc_fwd_len168_factors_7_6_4_wgs_252_tpt_42_halfLds_sp_ip_CI_sbcc_twdbase5_3step_dirReg_intrinsicReadWrite
		.amdhsa_group_segment_fixed_size 0
		.amdhsa_private_segment_fixed_size 0
		.amdhsa_kernarg_size 96
		.amdhsa_user_sgpr_count 2
		.amdhsa_user_sgpr_dispatch_ptr 0
		.amdhsa_user_sgpr_queue_ptr 0
		.amdhsa_user_sgpr_kernarg_segment_ptr 1
		.amdhsa_user_sgpr_dispatch_id 0
		.amdhsa_user_sgpr_kernarg_preload_length 0
		.amdhsa_user_sgpr_kernarg_preload_offset 0
		.amdhsa_user_sgpr_private_segment_size 0
		.amdhsa_uses_dynamic_stack 0
		.amdhsa_enable_private_segment 0
		.amdhsa_system_sgpr_workgroup_id_x 1
		.amdhsa_system_sgpr_workgroup_id_y 0
		.amdhsa_system_sgpr_workgroup_id_z 0
		.amdhsa_system_sgpr_workgroup_info 0
		.amdhsa_system_vgpr_workitem_id 0
		.amdhsa_next_free_vgpr 44
		.amdhsa_next_free_sgpr 41
		.amdhsa_accum_offset 44
		.amdhsa_reserve_vcc 1
		.amdhsa_float_round_mode_32 0
		.amdhsa_float_round_mode_16_64 0
		.amdhsa_float_denorm_mode_32 3
		.amdhsa_float_denorm_mode_16_64 3
		.amdhsa_dx10_clamp 1
		.amdhsa_ieee_mode 1
		.amdhsa_fp16_overflow 0
		.amdhsa_tg_split 0
		.amdhsa_exception_fp_ieee_invalid_op 0
		.amdhsa_exception_fp_denorm_src 0
		.amdhsa_exception_fp_ieee_div_zero 0
		.amdhsa_exception_fp_ieee_overflow 0
		.amdhsa_exception_fp_ieee_underflow 0
		.amdhsa_exception_fp_ieee_inexact 0
		.amdhsa_exception_int_div_zero 0
	.end_amdhsa_kernel
	.text
.Lfunc_end0:
	.size	fft_rtc_fwd_len168_factors_7_6_4_wgs_252_tpt_42_halfLds_sp_ip_CI_sbcc_twdbase5_3step_dirReg_intrinsicReadWrite, .Lfunc_end0-fft_rtc_fwd_len168_factors_7_6_4_wgs_252_tpt_42_halfLds_sp_ip_CI_sbcc_twdbase5_3step_dirReg_intrinsicReadWrite
                                        ; -- End function
	.section	.AMDGPU.csdata,"",@progbits
; Kernel info:
; codeLenInByte = 4760
; NumSgprs: 47
; NumVgprs: 44
; NumAgprs: 0
; TotalNumVgprs: 44
; ScratchSize: 0
; MemoryBound: 0
; FloatMode: 240
; IeeeMode: 1
; LDSByteSize: 0 bytes/workgroup (compile time only)
; SGPRBlocks: 5
; VGPRBlocks: 5
; NumSGPRsForWavesPerEU: 47
; NumVGPRsForWavesPerEU: 44
; AccumOffset: 44
; Occupancy: 8
; WaveLimiterHint : 1
; COMPUTE_PGM_RSRC2:SCRATCH_EN: 0
; COMPUTE_PGM_RSRC2:USER_SGPR: 2
; COMPUTE_PGM_RSRC2:TRAP_HANDLER: 0
; COMPUTE_PGM_RSRC2:TGID_X_EN: 1
; COMPUTE_PGM_RSRC2:TGID_Y_EN: 0
; COMPUTE_PGM_RSRC2:TGID_Z_EN: 0
; COMPUTE_PGM_RSRC2:TIDIG_COMP_CNT: 0
; COMPUTE_PGM_RSRC3_GFX90A:ACCUM_OFFSET: 10
; COMPUTE_PGM_RSRC3_GFX90A:TG_SPLIT: 0
	.text
	.p2alignl 6, 3212836864
	.fill 256, 4, 3212836864
	.type	__hip_cuid_2f3116fe476889fd,@object ; @__hip_cuid_2f3116fe476889fd
	.section	.bss,"aw",@nobits
	.globl	__hip_cuid_2f3116fe476889fd
__hip_cuid_2f3116fe476889fd:
	.byte	0                               ; 0x0
	.size	__hip_cuid_2f3116fe476889fd, 1

	.ident	"AMD clang version 19.0.0git (https://github.com/RadeonOpenCompute/llvm-project roc-6.4.0 25133 c7fe45cf4b819c5991fe208aaa96edf142730f1d)"
	.section	".note.GNU-stack","",@progbits
	.addrsig
	.addrsig_sym __hip_cuid_2f3116fe476889fd
	.amdgpu_metadata
---
amdhsa.kernels:
  - .agpr_count:     0
    .args:
      - .actual_access:  read_only
        .address_space:  global
        .offset:         0
        .size:           8
        .value_kind:     global_buffer
      - .address_space:  global
        .offset:         8
        .size:           8
        .value_kind:     global_buffer
      - .offset:         16
        .size:           8
        .value_kind:     by_value
      - .actual_access:  read_only
        .address_space:  global
        .offset:         24
        .size:           8
        .value_kind:     global_buffer
      - .actual_access:  read_only
        .address_space:  global
        .offset:         32
        .size:           8
        .value_kind:     global_buffer
      - .offset:         40
        .size:           8
        .value_kind:     by_value
      - .actual_access:  read_only
        .address_space:  global
        .offset:         48
        .size:           8
        .value_kind:     global_buffer
      - .actual_access:  read_only
        .address_space:  global
        .offset:         56
        .size:           8
        .value_kind:     global_buffer
      - .offset:         64
        .size:           4
        .value_kind:     by_value
      - .actual_access:  read_only
        .address_space:  global
        .offset:         72
        .size:           8
        .value_kind:     global_buffer
      - .actual_access:  read_only
        .address_space:  global
        .offset:         80
        .size:           8
        .value_kind:     global_buffer
      - .address_space:  global
        .offset:         88
        .size:           8
        .value_kind:     global_buffer
    .group_segment_fixed_size: 0
    .kernarg_segment_align: 8
    .kernarg_segment_size: 96
    .language:       OpenCL C
    .language_version:
      - 2
      - 0
    .max_flat_workgroup_size: 252
    .name:           fft_rtc_fwd_len168_factors_7_6_4_wgs_252_tpt_42_halfLds_sp_ip_CI_sbcc_twdbase5_3step_dirReg_intrinsicReadWrite
    .private_segment_fixed_size: 0
    .sgpr_count:     47
    .sgpr_spill_count: 0
    .symbol:         fft_rtc_fwd_len168_factors_7_6_4_wgs_252_tpt_42_halfLds_sp_ip_CI_sbcc_twdbase5_3step_dirReg_intrinsicReadWrite.kd
    .uniform_work_group_size: 1
    .uses_dynamic_stack: false
    .vgpr_count:     44
    .vgpr_spill_count: 0
    .wavefront_size: 64
amdhsa.target:   amdgcn-amd-amdhsa--gfx950
amdhsa.version:
  - 1
  - 2
...

	.end_amdgpu_metadata
